;; amdgpu-corpus repo=ROCm/aiter kind=harvested arch=n/a opt=n/a

/root/src/amdgpu-assembly/repos/ROCm__aiter/hsa/gfx950/fmha_v3_bwd/bwd_hd192_dq_shuffle_group.co:	file format elf64-amdgpu

Disassembly of section .text:

0000000000002100 <_ZN5aiter31fmha_bwd_hd192_dq_shuffle_groupE>:
	s_and_b32 s1, s1, 0xffff                                   // 000000002100: 8601FF01 0000FFFF
	s_load_dwordx2 s[12:13], s[0:1], 0x0                       // 000000002108: C0060300 00000000
	s_load_dwordx2 s[16:17], s[0:1], 0x10                      // 000000002110: C0060400 00000010
	s_load_dword s6, s[0:1], 0x20                              // 000000002118: C0020180 00000020
	s_load_dword s7, s[0:1], 0x30                              // 000000002120: C00201C0 00000030
	s_load_dword s8, s[0:1], 0x40                              // 000000002128: C0020200 00000040
	s_load_dword s9, s[0:1], 0x50                              // 000000002130: C0020240 00000050
	s_load_dword s11, s[0:1], 0x70                             // 000000002138: C00202C0 00000070
	s_load_dword s32, s[0:1], 0x90                             // 000000002140: C0020800 00000090
	s_load_dwordx2 s[36:37], s[0:1], 0xa0                      // 000000002148: C0060900 000000A0
	s_load_dwordx2 s[40:41], s[0:1], 0xb0                      // 000000002150: C0060A00 000000B0
	v_lshrrev_b32_e32 v1, 10, v0                               // 000000002158: 2002008A
	v_lshrrev_b32_e32 v2, 10, v1                               // 00000000215C: 2004028A
	v_and_b32_e32 v2, 0x3ff, v2                                // 000000002160: 260404FF 000003FF
	v_and_b32_e32 v1, 0x3ff, v1                                // 000000002168: 260202FF 000003FF
	v_and_b32_e32 v0, 0x3ff, v0                                // 000000002170: 260000FF 000003FF
	v_lshrrev_b32_e32 v3, 6, v0                                // 000000002178: 20060086
	v_and_b32_e32 v0, 63, v0                                   // 00000000217C: 260000BF
	s_mov_b32 s2, s2                                           // 000000002180: BE820002
	s_mov_b32 s3, s3                                           // 000000002184: BE830003
	s_mov_b32 s4, s4                                           // 000000002188: BE840004
	v_readfirstlane_b32 s24, v3                                // 00000000218C: 7E300503
	s_waitcnt lgkmcnt(0)                                       // 000000002190: BF8CC07F
	s_mul_i32 s25, s4, 4                                       // 000000002194: 92198404
	s_add_u32 s36, s25, s36                                    // 000000002198: 80242419
	s_addc_u32 s37, 0, s37                                     // 00000000219C: 82252580
	s_load_dwordx2 s[38:39], s[36:37], 0x0                     // 0000000021A0: C0060992 00000000
	s_add_u32 s40, s25, s40                                    // 0000000021A8: 80282819
	s_addc_u32 s41, 0, s41                                     // 0000000021AC: 82292980
	s_load_dword s42, s[40:41], 0x0                            // 0000000021B0: C0020A94 00000000
	s_mov_b32 s15, 0x20000                                     // 0000000021B8: BE8F00FF 00020000
	s_mov_b32 s19, 0x20000                                     // 0000000021C0: BE9300FF 00020000
	s_and_b32 s13, s13, 0xffff                                 // 0000000021C8: 860DFF0D 0000FFFF
	s_and_b32 s17, s17, 0xffff                                 // 0000000021D0: 8611FF11 0000FFFF
	s_or_b32 s13, s13, 0x40000                                 // 0000000021D8: 870DFF0D 00040000
	s_or_b32 s17, s17, 0x40000                                 // 0000000021E0: 8711FF11 00040000
	v_mov_b32_e32 v63, 0                                       // 0000000021E8: 7E7E0280
	s_mov_b32 s22, s16                                         // 0000000021EC: BE960010
	s_mov_b32 s23, s17                                         // 0000000021F0: BE970011
	s_mov_b32 s20, s12                                         // 0000000021F4: BE94000C
	s_mov_b32 s21, s13                                         // 0000000021F8: BE95000D
	s_waitcnt lgkmcnt(0)                                       // 0000000021FC: BF8CC07F
	s_mul_i32 s25, s2, 64                                      // 000000002200: 9219C002
	s_sub_i32 s30, s39, s38                                    // 000000002204: 819E2627
	s_mov_b32 s38, s42                                         // 000000002208: BEA6002A
	s_cmp_ge_i32 s25, s30                                      // 00000000220C: BF031E19
	s_cbranch_scc1 label_00EE                                  // 000000002210: BF8500A9
	s_add_u32 s31, s30, 15                                     // 000000002214: 801F8F1E
	s_lshr_b32 s31, s31, 4                                     // 000000002218: 8F1F841F
	s_lshl_b32 s31, s31, 4                                     // 00000000221C: 8E1F841F
	s_mul_i32 s25, s8, 64                                      // 000000002220: 9219C008
	s_mul_i32 s25, s2, s25                                     // 000000002224: 92191902
	s_mul_i32 s26, s3, s6                                      // 000000002228: 921A0603
	s_add_u32 s29, s25, s26                                    // 00000000222C: 801D1A19
	s_mul_i32 s26, s31, s8                                     // 000000002230: 921A081F
	s_sub_i32 s26, s26, s25                                    // 000000002234: 819A191A
	s_mov_b32 s14, s26                                         // 000000002238: BE8E001A
	s_add_u32 s12, s29, s20                                    // 00000000223C: 800C141D
	s_addc_u32 s13, 0, s21                                     // 000000002240: 820D1580
	s_mul_i32 s25, s38, s8                                     // 000000002244: 92190826
	s_mul_hi_u32 s26, s38, s8                                  // 000000002248: 961A0826
	s_and_b32 s26, s26, 0xffff                                 // 00000000224C: 861AFF1A 0000FFFF
	s_add_u32 s12, s12, s25                                    // 000000002254: 800C190C
	s_addc_u32 s13, s13, s26                                   // 000000002258: 820D1A0D
	s_mul_i32 s25, s11, 64                                     // 00000000225C: 9219C00B
	s_mul_i32 s25, s2, s25                                     // 000000002260: 92191902
	s_mul_i32 s26, s3, s9                                      // 000000002264: 921A0903
	s_mul_i32 s27, s38, s11                                    // 000000002268: 921B0B26
	s_add_u32 s28, s25, s26                                    // 00000000226C: 801C1A19
	s_mul_i32 s26, s30, s11                                    // 000000002270: 921A0B1E
	s_sub_i32 s26, s26, s25                                    // 000000002274: 819A191A
	s_mov_b32 s18, s26                                         // 000000002278: BE92001A
	s_add_u32 s16, s28, s22                                    // 00000000227C: 8010161C
	s_addc_u32 s17, 0, s23                                     // 000000002280: 82111780
	s_mul_hi_u32 s26, s38, s11                                 // 000000002284: 961A0B26
	s_and_b32 s26, s26, 0xffff                                 // 000000002288: 861AFF1A 0000FFFF
	s_add_u32 s16, s16, s27                                    // 000000002290: 80101B10
	s_addc_u32 s17, s17, s26                                   // 000000002294: 82111A11
	v_readfirstlane_b32 s24, v3                                // 000000002298: 7E300503
	v_mov_b32_e32 v4, 0                                        // 00000000229C: 7E080280
	v_and_b32_e32 v58, 31, v0                                  // 0000000022A0: 2674009F
	v_lshrrev_b32_e32 v58, 3, v58                              // 0000000022A4: 20747483
	v_mul_i32_i24_e32 v58, s8, v58                             // 0000000022A8: 0C747408
	v_lshlrev_b32_e32 v58, 2, v58                              // 0000000022AC: 24747482
	v_and_b32_e32 v59, 31, v0                                  // 0000000022B0: 2676009F
	v_and_b32_e64 v59, v59, 2                                  // 0000000022B4: D113003B 0001053B
	v_mul_i32_i24_e32 v59, 32, v59                             // 0000000022BC: 0C7676A0
	v_and_b32_e32 v60, 31, v0                                  // 0000000022C0: 2678009F
	v_and_b32_e64 v60, v60, 1                                  // 0000000022C4: D113003C 0001033C
	v_mul_i32_i24_e64 v60, v60, s8                             // 0000000022CC: D106003C 0000113C
	v_lshlrev_b32_e32 v60, 1, v60                              // 0000000022D4: 24787881
	v_and_b32_e32 v61, 7, v0                                   // 0000000022D8: 267A0087
	v_lshrrev_b32_e32 v61, 2, v61                              // 0000000022DC: 207A7A82
	v_mul_i32_i24_e32 v61, s8, v61                             // 0000000022E0: 0C7A7A08
	v_lshrrev_b32_e32 v62, 5, v0                               // 0000000022E4: 207C0085
	v_mul_i32_i24_e32 v62, 32, v62                             // 0000000022E8: 0C7C7CA0
	v_add_u32_e32 v4, v58, v4                                  // 0000000022EC: 6808093A
	v_add_u32_e32 v4, v59, v4                                  // 0000000022F0: 6808093B
	v_add_u32_e32 v4, v60, v4                                  // 0000000022F4: 6808093C
	v_add_u32_e32 v4, v61, v4                                  // 0000000022F8: 6808093D
	v_add_u32_e32 v4, v62, v4                                  // 0000000022FC: 6808093E
	s_mul_i32 s25, 16, s8                                      // 000000002300: 92190890
	s_mul_i32 s25, s24, s25                                    // 000000002304: 92191918
	v_add_u32_e32 v4, s25, v4                                  // 000000002308: 68080819
	v_add_u32_e32 v5, 16, v4                                   // 00000000230C: 680A0890
	v_add_u32_e32 v6, 0x80, v4                                 // 000000002310: 680C08FF 00000080
	v_add_u32_e32 v7, 0x80, v5                                 // 000000002318: 680E0AFF 00000080
	v_add_u32_e32 v8, 0x80, v6                                 // 000000002320: 68100CFF 00000080
	v_add_u32_e32 v9, 0x80, v7                                 // 000000002328: 68120EFF 00000080
	v_lshrrev_b32_e32 v58, 5, v0                               // 000000002330: 20740085
	v_mul_i32_i24_e32 v58, s11, v58                            // 000000002334: 0C74740B
	v_lshlrev_b32_e32 v58, 3, v58                              // 000000002338: 24747483
	v_and_b32_e64 v59, v0, 31                                  // 00000000233C: D113003B 00013F00
	v_mov_b32_e32 v10, v59                                     // 000000002344: 7E14033B
	s_mul_i32 s25, 16, s11                                     // 000000002348: 92190B90
	s_mul_i32 s25, s24, s25                                    // 00000000234C: 92191918
	v_lshlrev_b32_e32 v10, 2, v10                              // 000000002350: 24141482
	v_add_u32_e32 v10, v58, v10                                // 000000002354: 6814153A
	v_add_u32_e32 v10, s25, v10                                // 000000002358: 68141419
	v_add_u32_e32 v18, 0x80, v10                               // 00000000235C: 682414FF 00000080
	v_add_u32_e32 v26, 0x80, v18                               // 000000002364: 683424FF 00000080
	v_add_u32_e32 v11, s11, v10                                // 00000000236C: 6816140B
	v_add_u32_e32 v19, s11, v18                                // 000000002370: 6826240B
	v_add_u32_e32 v27, s11, v26                                // 000000002374: 6836340B
	v_add_u32_e32 v12, s11, v11                                // 000000002378: 6818160B
	v_add_u32_e32 v20, s11, v19                                // 00000000237C: 6828260B
	v_add_u32_e32 v28, s11, v27                                // 000000002380: 6838360B
	v_add_u32_e32 v13, s11, v12                                // 000000002384: 681A180B
	v_add_u32_e32 v21, s11, v20                                // 000000002388: 682A280B
	v_add_u32_e32 v29, s11, v28                                // 00000000238C: 683A380B
	v_add_u32_e32 v14, s11, v13                                // 000000002390: 681C1A0B
	v_add_u32_e32 v22, s11, v21                                // 000000002394: 682C2A0B
	v_add_u32_e32 v30, s11, v29                                // 000000002398: 683C3A0B
	v_add_u32_e32 v15, s11, v14                                // 00000000239C: 681E1C0B
	v_add_u32_e32 v23, s11, v22                                // 0000000023A0: 682E2C0B
	v_add_u32_e32 v31, s11, v30                                // 0000000023A4: 683E3C0B
	v_add_u32_e32 v16, s11, v15                                // 0000000023A8: 68201E0B
	v_add_u32_e32 v24, s11, v23                                // 0000000023AC: 68302E0B
	v_add_u32_e32 v32, s11, v31                                // 0000000023B0: 68403E0B
	v_add_u32_e32 v17, s11, v16                                // 0000000023B4: 6822200B
	v_add_u32_e32 v25, s11, v24                                // 0000000023B8: 6832300B
	v_add_u32_e32 v33, s11, v32                                // 0000000023BC: 6842400B
	buffer_load_dwordx4 v[34:37], v4, s[12:15], 0 offen        // 0000000023C0: E05C1000 80032204
	buffer_load_dwordx4 v[38:41], v5, s[12:15], 0 offen        // 0000000023C8: E05C1000 80032605
	buffer_load_dwordx4 v[42:45], v6, s[12:15], 0 offen        // 0000000023D0: E05C1000 80032A06
	buffer_load_dwordx4 v[46:49], v7, s[12:15], 0 offen        // 0000000023D8: E05C1000 80032E07
	buffer_load_dwordx4 v[50:53], v8, s[12:15], 0 offen        // 0000000023E0: E05C1000 80033208
	buffer_load_dwordx4 v[54:57], v9, s[12:15], 0 offen        // 0000000023E8: E05C1000 80033609
	s_waitcnt vmcnt(0) expcnt(0) lgkmcnt(0)                    // 0000000023F0: BF8C0000
	s_barrier                                                  // 0000000023F4: BF8A0000
	buffer_store_dword v34, v10, s[16:19], 0 offen             // 0000000023F8: E0701000 8004220A
	buffer_store_dword v35, v11, s[16:19], 0 offen             // 000000002400: E0701000 8004230B
	buffer_store_dword v36, v12, s[16:19], 0 offen             // 000000002408: E0701000 8004240C
	buffer_store_dword v37, v13, s[16:19], 0 offen             // 000000002410: E0701000 8004250D
	buffer_store_dword v38, v14, s[16:19], 0 offen             // 000000002418: E0701000 8004260E
	buffer_store_dword v39, v15, s[16:19], 0 offen             // 000000002420: E0701000 8004270F
	buffer_store_dword v40, v16, s[16:19], 0 offen             // 000000002428: E0701000 80042810
	buffer_store_dword v41, v17, s[16:19], 0 offen             // 000000002430: E0701000 80042911
	buffer_store_dword v42, v18, s[16:19], 0 offen             // 000000002438: E0701000 80042A12
	buffer_store_dword v43, v19, s[16:19], 0 offen             // 000000002440: E0701000 80042B13
	buffer_store_dword v44, v20, s[16:19], 0 offen             // 000000002448: E0701000 80042C14
	buffer_store_dword v45, v21, s[16:19], 0 offen             // 000000002450: E0701000 80042D15
	buffer_store_dword v46, v22, s[16:19], 0 offen             // 000000002458: E0701000 80042E16
	buffer_store_dword v47, v23, s[16:19], 0 offen             // 000000002460: E0701000 80042F17
	buffer_store_dword v48, v24, s[16:19], 0 offen             // 000000002468: E0701000 80043018
	buffer_store_dword v49, v25, s[16:19], 0 offen             // 000000002470: E0701000 80043119
	buffer_store_dword v50, v26, s[16:19], 0 offen             // 000000002478: E0701000 8004321A
	buffer_store_dword v51, v27, s[16:19], 0 offen             // 000000002480: E0701000 8004331B
	buffer_store_dword v52, v28, s[16:19], 0 offen             // 000000002488: E0701000 8004341C
	buffer_store_dword v53, v29, s[16:19], 0 offen             // 000000002490: E0701000 8004351D
	buffer_store_dword v54, v30, s[16:19], 0 offen             // 000000002498: E0701000 8004361E
	buffer_store_dword v55, v31, s[16:19], 0 offen             // 0000000024A0: E0701000 8004371F
	buffer_store_dword v56, v32, s[16:19], 0 offen             // 0000000024A8: E0701000 80043820
	buffer_store_dword v57, v33, s[16:19], 0 offen             // 0000000024B0: E0701000 80043921

00000000000024b8 <label_00EE>:
	s_waitcnt vmcnt(0) expcnt(0) lgkmcnt(0)                    // 0000000024B8: BF8C0000
	s_endpgm                                                   // 0000000024BC: BF810000
